;; amdgpu-corpus repo=ROCm/rocm-examples kind=compiled arch=gfx90a opt=O3
	.text
	.amdgcn_target "amdgcn-amd-amdhsa--gfx90a"
	.amdhsa_code_object_version 6
	.protected	_Z21matrix_multiply_naivePfS_S_iii ; -- Begin function _Z21matrix_multiply_naivePfS_S_iii
	.globl	_Z21matrix_multiply_naivePfS_S_iii
	.p2align	8
	.type	_Z21matrix_multiply_naivePfS_S_iii,@function
_Z21matrix_multiply_naivePfS_S_iii:     ; @_Z21matrix_multiply_naivePfS_S_iii
; %bb.0:
	s_load_dword s0, s[4:5], 0x34
	s_load_dwordx4 s[8:11], s[4:5], 0x18
	v_and_b32_e32 v1, 0x3ff, v0
	v_bfe_u32 v0, v0, 10, 10
	s_waitcnt lgkmcnt(0)
	s_lshr_b32 s1, s0, 16
	s_and_b32 s0, s0, 0xffff
	s_mul_i32 s6, s6, s0
	s_mul_i32 s7, s7, s1
	v_add_u32_e32 v2, s6, v1
	v_add_u32_e32 v3, s7, v0
	v_cmp_gt_i32_e32 vcc, s9, v2
	v_cmp_gt_i32_e64 s[0:1], s8, v3
	s_and_b64 s[0:1], vcc, s[0:1]
	s_and_saveexec_b64 s[2:3], s[0:1]
	s_cbranch_execz .LBB0_6
; %bb.1:
	s_load_dwordx4 s[0:3], s[4:5], 0x0
	s_load_dwordx2 s[6:7], s[4:5], 0x10
	s_cmp_lt_i32 s10, 1
	s_cbranch_scc1 .LBB0_4
; %bb.2:
	v_mul_lo_u32 v0, v3, s10
	v_ashrrev_i32_e32 v1, 31, v0
	v_lshlrev_b64 v[0:1], 2, v[0:1]
	s_waitcnt lgkmcnt(0)
	v_mov_b32_e32 v4, s1
	v_add_co_u32_e32 v0, vcc, s0, v0
	v_addc_co_u32_e32 v1, vcc, v4, v1, vcc
	v_mov_b32_e32 v6, 0
	v_mov_b32_e32 v7, s3
	;; [unrolled: 1-line block ×3, first 2 shown]
.LBB0_3:                                ; =>This Inner Loop Header: Depth=1
	v_ashrrev_i32_e32 v5, 31, v4
	v_lshlrev_b64 v[8:9], 2, v[4:5]
	v_add_co_u32_e32 v8, vcc, s2, v8
	v_addc_co_u32_e32 v9, vcc, v7, v9, vcc
	global_load_dword v10, v[0:1], off
	global_load_dword v5, v[8:9], off
	s_add_i32 s10, s10, -1
	v_add_co_u32_e32 v0, vcc, 4, v0
	v_addc_co_u32_e32 v1, vcc, 0, v1, vcc
	v_add_u32_e32 v4, s9, v4
	s_cmp_eq_u32 s10, 0
	s_waitcnt vmcnt(0)
	v_fmac_f32_e32 v6, v10, v5
	s_cbranch_scc0 .LBB0_3
	s_branch .LBB0_5
.LBB0_4:
	v_mov_b32_e32 v6, 0
.LBB0_5:
	s_waitcnt lgkmcnt(0)
	v_mad_u64_u32 v[0:1], s[0:1], v3, s9, v[2:3]
	v_ashrrev_i32_e32 v1, 31, v0
	v_lshlrev_b64 v[0:1], 2, v[0:1]
	v_mov_b32_e32 v2, s7
	v_add_co_u32_e32 v0, vcc, s6, v0
	v_addc_co_u32_e32 v1, vcc, v2, v1, vcc
	global_store_dword v[0:1], v6, off
.LBB0_6:
	s_endpgm
	.section	.rodata,"a",@progbits
	.p2align	6, 0x0
	.amdhsa_kernel _Z21matrix_multiply_naivePfS_S_iii
		.amdhsa_group_segment_fixed_size 0
		.amdhsa_private_segment_fixed_size 0
		.amdhsa_kernarg_size 296
		.amdhsa_user_sgpr_count 6
		.amdhsa_user_sgpr_private_segment_buffer 1
		.amdhsa_user_sgpr_dispatch_ptr 0
		.amdhsa_user_sgpr_queue_ptr 0
		.amdhsa_user_sgpr_kernarg_segment_ptr 1
		.amdhsa_user_sgpr_dispatch_id 0
		.amdhsa_user_sgpr_flat_scratch_init 0
		.amdhsa_user_sgpr_kernarg_preload_length 0
		.amdhsa_user_sgpr_kernarg_preload_offset 0
		.amdhsa_user_sgpr_private_segment_size 0
		.amdhsa_uses_dynamic_stack 0
		.amdhsa_system_sgpr_private_segment_wavefront_offset 0
		.amdhsa_system_sgpr_workgroup_id_x 1
		.amdhsa_system_sgpr_workgroup_id_y 1
		.amdhsa_system_sgpr_workgroup_id_z 0
		.amdhsa_system_sgpr_workgroup_info 0
		.amdhsa_system_vgpr_workitem_id 1
		.amdhsa_next_free_vgpr 11
		.amdhsa_next_free_sgpr 12
		.amdhsa_accum_offset 12
		.amdhsa_reserve_vcc 1
		.amdhsa_reserve_flat_scratch 0
		.amdhsa_float_round_mode_32 0
		.amdhsa_float_round_mode_16_64 0
		.amdhsa_float_denorm_mode_32 3
		.amdhsa_float_denorm_mode_16_64 3
		.amdhsa_dx10_clamp 1
		.amdhsa_ieee_mode 1
		.amdhsa_fp16_overflow 0
		.amdhsa_tg_split 0
		.amdhsa_exception_fp_ieee_invalid_op 0
		.amdhsa_exception_fp_denorm_src 0
		.amdhsa_exception_fp_ieee_div_zero 0
		.amdhsa_exception_fp_ieee_overflow 0
		.amdhsa_exception_fp_ieee_underflow 0
		.amdhsa_exception_fp_ieee_inexact 0
		.amdhsa_exception_int_div_zero 0
	.end_amdhsa_kernel
	.text
.Lfunc_end0:
	.size	_Z21matrix_multiply_naivePfS_S_iii, .Lfunc_end0-_Z21matrix_multiply_naivePfS_S_iii
                                        ; -- End function
	.section	.AMDGPU.csdata,"",@progbits
; Kernel info:
; codeLenInByte = 284
; NumSgprs: 16
; NumVgprs: 11
; NumAgprs: 0
; TotalNumVgprs: 11
; ScratchSize: 0
; MemoryBound: 0
; FloatMode: 240
; IeeeMode: 1
; LDSByteSize: 0 bytes/workgroup (compile time only)
; SGPRBlocks: 1
; VGPRBlocks: 1
; NumSGPRsForWavesPerEU: 16
; NumVGPRsForWavesPerEU: 11
; AccumOffset: 12
; Occupancy: 8
; WaveLimiterHint : 0
; COMPUTE_PGM_RSRC2:SCRATCH_EN: 0
; COMPUTE_PGM_RSRC2:USER_SGPR: 6
; COMPUTE_PGM_RSRC2:TRAP_HANDLER: 0
; COMPUTE_PGM_RSRC2:TGID_X_EN: 1
; COMPUTE_PGM_RSRC2:TGID_Y_EN: 1
; COMPUTE_PGM_RSRC2:TGID_Z_EN: 0
; COMPUTE_PGM_RSRC2:TIDIG_COMP_CNT: 1
; COMPUTE_PGM_RSRC3_GFX90A:ACCUM_OFFSET: 2
; COMPUTE_PGM_RSRC3_GFX90A:TG_SPLIT: 0
	.text
	.protected	_Z26matrix_multiply_lds_tilingPfS_S_iii ; -- Begin function _Z26matrix_multiply_lds_tilingPfS_S_iii
	.globl	_Z26matrix_multiply_lds_tilingPfS_S_iii
	.p2align	8
	.type	_Z26matrix_multiply_lds_tilingPfS_S_iii,@function
_Z26matrix_multiply_lds_tilingPfS_S_iii: ; @_Z26matrix_multiply_lds_tilingPfS_S_iii
; %bb.0:
	s_load_dwordx4 s[12:15], s[4:5], 0x0
	s_load_dwordx2 s[16:17], s[4:5], 0x10
	s_load_dwordx4 s[8:11], s[4:5], 0x18
	v_and_b32_e32 v4, 0x3ff, v0
	v_bfe_u32 v5, v0, 10, 10
	s_lshl_b32 s2, s6, 4
	v_lshl_add_u32 v1, s7, 4, v5
	v_add_u32_e32 v0, s2, v4
	s_waitcnt lgkmcnt(0)
	s_cmp_lt_i32 s10, 1
	v_cmp_gt_i32_e32 vcc, s8, v1
	v_cmp_gt_i32_e64 s[0:1], s9, v0
	s_cbranch_scc1 .LBB1_7
; %bb.1:
	v_lshlrev_b32_e32 v2, 2, v4
	v_lshlrev_b32_e32 v6, 6, v5
	s_add_i32 s3, s10, 15
	v_add_u32_e32 v7, v6, v2
	v_add_u32_e32 v9, 0x400, v2
	v_mul_lo_u32 v2, v5, s9
	s_lshr_b32 s6, s3, 4
	v_mul_lo_u32 v8, v1, s10
	v_add_u32_e32 v10, v9, v6
	v_add3_u32 v2, v4, v2, s2
	s_lshl_b32 s7, s9, 4
	v_mov_b32_e32 v11, 0
	s_branch .LBB1_3
.LBB1_2:                                ;   in Loop: Header=BB1_3 Depth=1
	s_or_b64 exec, exec, s[4:5]
	s_waitcnt vmcnt(0)
	ds_write_b32 v10, v3
	s_waitcnt lgkmcnt(0)
	s_barrier
	ds_read2_b32 v[28:29], v9 offset1:16
	ds_read_b128 v[12:15], v6
	ds_read_b128 v[16:19], v6 offset:16
	ds_read2_b32 v[30:31], v9 offset0:32 offset1:48
	ds_read_b128 v[20:23], v6 offset:32
	ds_read_b128 v[24:27], v6 offset:48
	ds_read2_b32 v[32:33], v9 offset0:64 offset1:80
	s_waitcnt lgkmcnt(5)
	v_fmac_f32_e32 v11, v12, v28
	v_fmac_f32_e32 v11, v13, v29
	s_waitcnt lgkmcnt(3)
	v_fmac_f32_e32 v11, v14, v30
	v_fmac_f32_e32 v11, v15, v31
	ds_read2_b32 v[12:13], v9 offset0:96 offset1:112
	s_waitcnt lgkmcnt(1)
	v_pk_mul_f32 v[14:15], v[16:17], v[32:33]
	v_add_f32_e32 v3, v11, v14
	v_add_f32_e32 v3, v3, v15
	ds_read2_b32 v[14:15], v9 offset0:128 offset1:144
	s_waitcnt lgkmcnt(1)
	v_pk_mul_f32 v[12:13], v[18:19], v[12:13]
	v_add_f32_e32 v3, v3, v12
	v_add_f32_e32 v3, v3, v13
	;; [unrolled: 5-line block ×3, first 2 shown]
	ds_read2_b32 v[14:15], v9 offset0:192 offset1:208
	ds_read2_b32 v[16:17], v9 offset0:224 offset1:240
	s_waitcnt lgkmcnt(2)
	v_pk_mul_f32 v[12:13], v[22:23], v[12:13]
	v_add_f32_e32 v3, v3, v12
	v_add_f32_e32 v3, v3, v13
	s_waitcnt lgkmcnt(1)
	v_pk_mul_f32 v[12:13], v[24:25], v[14:15]
	v_add_f32_e32 v3, v3, v12
	v_add_f32_e32 v3, v3, v13
	s_waitcnt lgkmcnt(0)
	v_pk_mul_f32 v[12:13], v[26:27], v[16:17]
	v_add_f32_e32 v3, v3, v12
	s_add_i32 s6, s6, -1
	v_add_f32_e32 v11, v3, v13
	v_add_u32_e32 v4, 16, v4
	v_add_u32_e32 v2, s7, v2
	s_cmp_eq_u32 s6, 0
	v_add_u32_e32 v5, 16, v5
	s_barrier
	s_cbranch_scc1 .LBB1_8
.LBB1_3:                                ; =>This Inner Loop Header: Depth=1
	v_cmp_gt_i32_e64 s[2:3], s10, v4
	s_and_b64 s[2:3], vcc, s[2:3]
	v_mov_b32_e32 v3, 0
	s_and_saveexec_b64 s[4:5], s[2:3]
	s_cbranch_execz .LBB1_5
; %bb.4:                                ;   in Loop: Header=BB1_3 Depth=1
	v_add_u32_e32 v12, v8, v4
	v_ashrrev_i32_e32 v13, 31, v12
	v_lshlrev_b64 v[12:13], 2, v[12:13]
	v_mov_b32_e32 v3, s13
	v_add_co_u32_e64 v12, s[2:3], s12, v12
	v_addc_co_u32_e64 v13, s[2:3], v3, v13, s[2:3]
	global_load_dword v3, v[12:13], off
.LBB1_5:                                ;   in Loop: Header=BB1_3 Depth=1
	s_or_b64 exec, exec, s[4:5]
	v_cmp_gt_i32_e64 s[2:3], s10, v5
	s_waitcnt vmcnt(0)
	ds_write_b32 v7, v3
	s_and_b64 s[2:3], s[0:1], s[2:3]
	v_mov_b32_e32 v3, 0
	s_and_saveexec_b64 s[4:5], s[2:3]
	s_cbranch_execz .LBB1_2
; %bb.6:                                ;   in Loop: Header=BB1_3 Depth=1
	v_ashrrev_i32_e32 v3, 31, v2
	v_lshlrev_b64 v[12:13], 2, v[2:3]
	v_mov_b32_e32 v3, s15
	v_add_co_u32_e64 v12, s[2:3], s14, v12
	v_addc_co_u32_e64 v13, s[2:3], v3, v13, s[2:3]
	global_load_dword v3, v[12:13], off
	s_branch .LBB1_2
.LBB1_7:
	v_mov_b32_e32 v11, 0
.LBB1_8:
	v_cmp_gt_i32_e32 vcc, s8, v1
	v_cmp_gt_i32_e64 s[0:1], s9, v0
	s_and_b64 s[0:1], vcc, s[0:1]
	s_and_saveexec_b64 s[2:3], s[0:1]
	s_cbranch_execz .LBB1_10
; %bb.9:
	v_mad_u64_u32 v[0:1], s[0:1], v1, s9, v[0:1]
	v_ashrrev_i32_e32 v1, 31, v0
	v_lshlrev_b64 v[0:1], 2, v[0:1]
	v_mov_b32_e32 v2, s17
	v_add_co_u32_e32 v0, vcc, s16, v0
	v_addc_co_u32_e32 v1, vcc, v2, v1, vcc
	global_store_dword v[0:1], v11, off
.LBB1_10:
	s_endpgm
	.section	.rodata,"a",@progbits
	.p2align	6, 0x0
	.amdhsa_kernel _Z26matrix_multiply_lds_tilingPfS_S_iii
		.amdhsa_group_segment_fixed_size 2048
		.amdhsa_private_segment_fixed_size 0
		.amdhsa_kernarg_size 36
		.amdhsa_user_sgpr_count 6
		.amdhsa_user_sgpr_private_segment_buffer 1
		.amdhsa_user_sgpr_dispatch_ptr 0
		.amdhsa_user_sgpr_queue_ptr 0
		.amdhsa_user_sgpr_kernarg_segment_ptr 1
		.amdhsa_user_sgpr_dispatch_id 0
		.amdhsa_user_sgpr_flat_scratch_init 0
		.amdhsa_user_sgpr_kernarg_preload_length 0
		.amdhsa_user_sgpr_kernarg_preload_offset 0
		.amdhsa_user_sgpr_private_segment_size 0
		.amdhsa_uses_dynamic_stack 0
		.amdhsa_system_sgpr_private_segment_wavefront_offset 0
		.amdhsa_system_sgpr_workgroup_id_x 1
		.amdhsa_system_sgpr_workgroup_id_y 1
		.amdhsa_system_sgpr_workgroup_id_z 0
		.amdhsa_system_sgpr_workgroup_info 0
		.amdhsa_system_vgpr_workitem_id 1
		.amdhsa_next_free_vgpr 34
		.amdhsa_next_free_sgpr 18
		.amdhsa_accum_offset 36
		.amdhsa_reserve_vcc 1
		.amdhsa_reserve_flat_scratch 0
		.amdhsa_float_round_mode_32 0
		.amdhsa_float_round_mode_16_64 0
		.amdhsa_float_denorm_mode_32 3
		.amdhsa_float_denorm_mode_16_64 3
		.amdhsa_dx10_clamp 1
		.amdhsa_ieee_mode 1
		.amdhsa_fp16_overflow 0
		.amdhsa_tg_split 0
		.amdhsa_exception_fp_ieee_invalid_op 0
		.amdhsa_exception_fp_denorm_src 0
		.amdhsa_exception_fp_ieee_div_zero 0
		.amdhsa_exception_fp_ieee_overflow 0
		.amdhsa_exception_fp_ieee_underflow 0
		.amdhsa_exception_fp_ieee_inexact 0
		.amdhsa_exception_int_div_zero 0
	.end_amdhsa_kernel
	.text
.Lfunc_end1:
	.size	_Z26matrix_multiply_lds_tilingPfS_S_iii, .Lfunc_end1-_Z26matrix_multiply_lds_tilingPfS_S_iii
                                        ; -- End function
	.section	.AMDGPU.csdata,"",@progbits
; Kernel info:
; codeLenInByte = 664
; NumSgprs: 22
; NumVgprs: 34
; NumAgprs: 0
; TotalNumVgprs: 34
; ScratchSize: 0
; MemoryBound: 0
; FloatMode: 240
; IeeeMode: 1
; LDSByteSize: 2048 bytes/workgroup (compile time only)
; SGPRBlocks: 2
; VGPRBlocks: 4
; NumSGPRsForWavesPerEU: 22
; NumVGPRsForWavesPerEU: 34
; AccumOffset: 36
; Occupancy: 8
; WaveLimiterHint : 0
; COMPUTE_PGM_RSRC2:SCRATCH_EN: 0
; COMPUTE_PGM_RSRC2:USER_SGPR: 6
; COMPUTE_PGM_RSRC2:TRAP_HANDLER: 0
; COMPUTE_PGM_RSRC2:TGID_X_EN: 1
; COMPUTE_PGM_RSRC2:TGID_Y_EN: 1
; COMPUTE_PGM_RSRC2:TGID_Z_EN: 0
; COMPUTE_PGM_RSRC2:TIDIG_COMP_CNT: 1
; COMPUTE_PGM_RSRC3_GFX90A:ACCUM_OFFSET: 8
; COMPUTE_PGM_RSRC3_GFX90A:TG_SPLIT: 0
	.text
	.protected	_Z31matrix_multiply_register_tilingPfS_S_iii ; -- Begin function _Z31matrix_multiply_register_tilingPfS_S_iii
	.globl	_Z31matrix_multiply_register_tilingPfS_S_iii
	.p2align	8
	.type	_Z31matrix_multiply_register_tilingPfS_S_iii,@function
_Z31matrix_multiply_register_tilingPfS_S_iii: ; @_Z31matrix_multiply_register_tilingPfS_S_iii
; %bb.0:
	s_load_dword s0, s[4:5], 0x34
	s_load_dwordx4 s[36:39], s[4:5], 0x18
	s_load_dwordx4 s[40:43], s[4:5], 0x0
	s_load_dwordx2 s[44:45], s[4:5], 0x10
	v_and_b32_e32 v1, 0x3ff, v0
	s_waitcnt lgkmcnt(0)
	s_and_b32 s0, s0, 0xffff
	v_bfe_u32 v0, v0, 10, 10
	v_mad_u32_u24 v0, v0, s0, v1
	v_and_b32_e32 v1, 60, v0
	v_lshrrev_b32_e32 v2, 1, v0
	s_mov_b32 s0, 0x3ffffc0
	v_and_or_b32 v31, v2, s0, v1
	v_lshlrev_b32_e32 v2, 2, v0
	v_lshrrev_b32_e32 v1, 2, v0
	v_and_b32_e32 v2, 12, v2
	s_lshl_b32 s33, s7, 7
	s_lshl_b32 s39, s6, 5
	v_mov_b32_e32 v17, 0
	v_and_or_b32 v72, v1, 16, v2
	s_mov_b32 s52, 0
	s_cmp_lt_i32 s38, 1
	v_mov_b32_e32 v16, v17
	v_mov_b32_e32 v19, v17
	;; [unrolled: 1-line block ×15, first 2 shown]
	s_cbranch_scc1 .LBB2_63
; %bb.1:
	v_and_b32_e32 v1, 31, v0
	v_and_b32_e32 v30, 15, v0
	v_or_b32_e32 v2, s39, v1
	v_cmp_gt_i32_e64 s[30:31], s37, v2
	v_lshrrev_b32_e32 v2, 4, v0
	v_lshlrev_b32_e32 v4, 2, v30
	s_movk_i32 s46, 0x50
	v_add_u32_e32 v3, s33, v2
	v_mad_u32_u24 v73, v2, s46, v4
	v_add_u32_e32 v2, 0x100, v0
	v_lshrrev_b32_e32 v5, 4, v2
	v_add_u32_e32 v6, s33, v5
	v_mad_u32_u24 v74, v5, s46, v4
	v_add_u32_e32 v5, 0x200, v0
	v_lshrrev_b32_e32 v5, 4, v5
	;; [unrolled: 4-line block ×5, first 2 shown]
	v_add_u32_e32 v10, s33, v5
	v_mad_u32_u24 v78, v5, s46, v4
	v_add_u32_e32 v5, 0x600, v0
	s_add_i32 s0, s38, 15
	v_lshrrev_b32_e32 v5, 4, v5
	s_lshr_b32 s53, s0, 4
	s_movk_i32 s0, 0x800
	s_movk_i32 s28, 0x100
	;; [unrolled: 1-line block ×8, first 2 shown]
	v_add_u32_e32 v11, s33, v5
	v_mad_u32_u24 v79, v5, s46, v4
	v_add_u32_e32 v5, 0x700, v0
	v_cmp_gt_u32_e64 s[0:1], s0, v0
	v_cmp_gt_u32_e64 s[4:5], s4, v0
	;; [unrolled: 1-line block ×7, first 2 shown]
	v_lshrrev_b32_e32 v5, 4, v5
	v_cmp_gt_u32_e64 s[28:29], s28, v0
	v_lshrrev_b32_e32 v81, 5, v0
	v_lshlrev_b32_e32 v0, 2, v1
	v_lshrrev_b32_e32 v83, 5, v2
	v_add_u32_e32 v12, s33, v5
	v_mad_u32_u24 v80, v5, s46, v4
	v_lshl_or_b32 v4, v81, 7, v0
	v_lshl_or_b32 v0, v83, 7, v0
	s_and_b64 s[34:35], s[30:31], s[24:25]
	s_and_b64 s[30:31], s[30:31], s[28:29]
	v_add_u32_e32 v84, 0x2800, v0
	v_mul_lo_u32 v85, v31, s46
	v_mov_b32_e32 v0, 0x2800
	v_mad_u64_u32 v[34:35], s[46:47], v12, s38, v[30:31]
	v_mad_u64_u32 v[36:37], s[46:47], v11, s38, v[30:31]
	;; [unrolled: 1-line block ×8, first 2 shown]
	v_mov_b32_e32 v52, 0
	v_cmp_gt_i32_e32 vcc, s36, v3
	v_cmp_gt_i32_e64 s[2:3], s36, v6
	v_cmp_gt_i32_e64 s[6:7], s36, v7
	v_cmp_gt_i32_e64 s[10:11], s36, v8
	v_cmp_gt_i32_e64 s[14:15], s36, v9
	v_cmp_gt_i32_e64 s[18:19], s36, v10
	v_cmp_gt_i32_e64 s[22:23], s36, v11
	v_cmp_gt_i32_e64 s[26:27], s36, v12
	v_add_u32_e32 v82, 0x2800, v4
	v_lshl_or_b32 v86, v72, 2, v0
	v_mul_lo_u32 v87, s37, v81
	v_add_u32_e32 v88, s39, v1
	s_lshl_b32 s54, s37, 4
	v_mul_lo_u32 v89, s37, v83
	v_mov_b32_e32 v35, 0
	s_xor_b64 s[46:47], s[34:35], -1
	s_xor_b64 s[48:49], s[30:31], -1
	v_mov_b32_e32 v53, v52
	v_mov_b32_e32 v50, v52
	;; [unrolled: 1-line block ×15, first 2 shown]
	s_branch .LBB2_3
.LBB2_2:                                ;   in Loop: Header=BB2_3 Depth=1
	s_or_b64 exec, exec, s[34:35]
	s_waitcnt lgkmcnt(0)
	s_barrier
	ds_read_b96 v[4:6], v85
	ds_read2_b32 v[20:21], v85 offset0:3 offset1:4
	ds_read_b96 v[12:14], v85 offset:80
	ds_read_b96 v[8:10], v85 offset:160
	ds_read2_b32 v[54:55], v85 offset0:13 offset1:14
	ds_read2_b32 v[92:93], v85 offset0:43 offset1:44
	ds_read_b128 v[56:59], v86
	ds_read_b128 v[60:63], v85 offset:240
	ds_read_b128 v[0:3], v85 offset:256
	;; [unrolled: 1-line block ×4, first 2 shown]
	s_waitcnt lgkmcnt(10)
	v_mov_b32_e32 v22, v5
	v_mov_b32_e32 v23, v6
	s_waitcnt lgkmcnt(3)
	v_pk_fma_f32 v[18:19], v[60:61], v[56:57], v[18:19] op_sel_hi:[0,1,1]
	v_fmac_f32_e32 v52, v4, v56
	v_fmac_f32_e32 v53, v4, v57
	;; [unrolled: 1-line block ×6, first 2 shown]
	s_waitcnt lgkmcnt(1)
	v_pk_fma_f32 v[56:57], v[60:61], v[64:65], v[18:19] op_sel:[1,0,0]
	v_fmac_f32_e32 v50, v4, v58
	v_fmac_f32_e32 v51, v4, v59
	;; [unrolled: 1-line block ×6, first 2 shown]
	v_pk_fma_f32 v[58:59], v[60:61], v[58:59], v[16:17] op_sel_hi:[0,1,1]
	ds_read_b128 v[16:19], v86 offset:384
	v_mov_b32_e32 v96, v67
	s_waitcnt lgkmcnt(1)
	v_mov_b32_e32 v97, v71
	v_fmac_f32_e32 v52, v5, v64
	v_fmac_f32_e32 v53, v5, v65
	;; [unrolled: 1-line block ×3, first 2 shown]
	v_pk_mul_f32 v[4:5], v[22:23], v[96:97]
	v_mov_b32_e32 v90, v13
	v_mov_b32_e32 v91, v14
	v_add_f32_e32 v4, v4, v51
	v_add_f32_e32 v37, v5, v4
	v_pk_mul_f32 v[4:5], v[90:91], v[96:97]
	v_add_f32_e32 v4, v4, v29
	v_fmac_f32_e32 v52, v6, v68
	v_fmac_f32_e32 v53, v6, v69
	;; [unrolled: 1-line block ×3, first 2 shown]
	v_add_f32_e32 v29, v5, v4
	ds_read_b128 v[4:7], v86 offset:512
	v_pk_fma_f32 v[56:57], v[62:63], v[68:69], v[56:57] op_sel_hi:[0,1,1]
	v_mov_b32_e32 v8, v63
	v_mov_b32_e32 v94, v9
	;; [unrolled: 1-line block ×3, first 2 shown]
	s_waitcnt lgkmcnt(1)
	v_pk_fma_f32 v[22:23], v[8:9], v[16:17], v[56:57] op_sel_hi:[0,1,1]
	v_pk_fma_f32 v[56:57], v[60:61], v[66:67], v[58:59] op_sel:[1,0,0]
	v_fmac_f32_e32 v26, v9, v64
	v_fmac_f32_e32 v27, v9, v65
	;; [unrolled: 1-line block ×3, first 2 shown]
	s_waitcnt lgkmcnt(0)
	v_pk_fma_f32 v[60:61], v[0:1], v[4:5], v[22:23] op_sel_hi:[0,1,1]
	v_pk_mul_f32 v[22:23], v[94:95], v[96:97]
	v_fmac_f32_e32 v26, v10, v68
	v_fmac_f32_e32 v27, v10, v69
	v_add_f32_e32 v9, v22, v25
	v_fmac_f32_e32 v24, v10, v70
	v_pk_fma_f32 v[10:11], v[62:63], v[70:71], v[56:57] op_sel_hi:[0,1,1]
	v_fmac_f32_e32 v32, v13, v64
	v_fmac_f32_e32 v33, v13, v65
	;; [unrolled: 1-line block ×3, first 2 shown]
	v_add_f32_e32 v25, v23, v9
	v_pk_fma_f32 v[8:9], v[8:9], v[18:19], v[10:11] op_sel_hi:[0,1,1]
	v_fmac_f32_e32 v52, v20, v16
	v_fmac_f32_e32 v53, v20, v17
	;; [unrolled: 1-line block ×3, first 2 shown]
	v_mov_b32_e32 v10, v19
	v_mov_b32_e32 v11, v7
	v_fmac_f32_e32 v32, v14, v68
	v_fmac_f32_e32 v33, v14, v69
	;; [unrolled: 1-line block ×3, first 2 shown]
	ds_read_b128 v[12:15], v86 offset:640
	v_fmac_f32_e32 v52, v21, v4
	v_fmac_f32_e32 v53, v21, v5
	v_pk_mul_f32 v[22:23], v[20:21], v[10:11]
	v_fmac_f32_e32 v50, v21, v6
	ds_read2_b32 v[20:21], v85 offset0:23 offset1:24
	v_add_f32_e32 v19, v22, v37
	v_fmac_f32_e32 v26, v92, v16
	v_fmac_f32_e32 v27, v92, v17
	v_add_f32_e32 v51, v23, v19
	s_waitcnt lgkmcnt(0)
	v_fmac_f32_e32 v32, v20, v16
	v_fmac_f32_e32 v33, v20, v17
	;; [unrolled: 1-line block ×4, first 2 shown]
	v_pk_mul_f32 v[22:23], v[20:21], v[10:11]
	v_fmac_f32_e32 v26, v93, v4
	v_fmac_f32_e32 v27, v93, v5
	v_pk_mul_f32 v[4:5], v[92:93], v[10:11]
	v_fmac_f32_e32 v28, v20, v18
	v_add_f32_e32 v19, v22, v29
	v_fmac_f32_e32 v24, v92, v18
	v_add_f32_e32 v4, v4, v25
	ds_read2_b32 v[68:69], v85 offset0:25 offset1:26
	ds_read2_b32 v[58:59], v85 offset0:27 offset1:28
	;; [unrolled: 1-line block ×3, first 2 shown]
	v_fmac_f32_e32 v28, v21, v6
	v_add_f32_e32 v29, v23, v19
	v_fmac_f32_e32 v24, v93, v6
	v_add_f32_e32 v25, v5, v4
	v_pk_fma_f32 v[64:65], v[0:1], v[6:7], v[8:9] op_sel_hi:[0,1,1]
	ds_read_b128 v[20:23], v86 offset:768
	ds_read_b128 v[16:19], v86 offset:896
	ds_read2_b32 v[70:71], v85 offset0:5 offset1:6
	ds_read2_b32 v[90:91], v85 offset0:7 offset1:8
	;; [unrolled: 1-line block ×4, first 2 shown]
	ds_read_b128 v[4:7], v86 offset:1024
	s_waitcnt lgkmcnt(4)
	v_pk_fma_f32 v[8:9], v[70:71], v[12:13], v[52:53] op_sel_hi:[0,1,1]
	v_pk_fma_f32 v[50:51], v[70:71], v[14:15], v[50:51] op_sel_hi:[0,1,1]
	v_pk_fma_f32 v[8:9], v[70:71], v[20:21], v[8:9] op_sel:[1,0,0]
	v_pk_fma_f32 v[50:51], v[70:71], v[22:23], v[50:51] op_sel:[1,0,0]
	s_waitcnt lgkmcnt(3)
	v_pk_fma_f32 v[52:53], v[90:91], v[16:17], v[8:9] op_sel_hi:[0,1,1]
	v_pk_fma_f32 v[50:51], v[90:91], v[18:19], v[50:51] op_sel_hi:[0,1,1]
	ds_read_b128 v[8:11], v86 offset:1152
	s_waitcnt lgkmcnt(1)
	v_pk_fma_f32 v[52:53], v[90:91], v[4:5], v[52:53] op_sel:[1,0,0]
	v_pk_fma_f32 v[50:51], v[90:91], v[6:7], v[50:51] op_sel:[1,0,0]
	ds_read2_b32 v[90:91], v85 offset0:45 offset1:46
	v_pk_fma_f32 v[32:33], v[68:69], v[12:13], v[32:33] op_sel_hi:[0,1,1]
	v_pk_fma_f32 v[28:29], v[68:69], v[14:15], v[28:29] op_sel_hi:[0,1,1]
	v_pk_fma_f32 v[32:33], v[68:69], v[20:21], v[32:33] op_sel:[1,0,0]
	v_pk_fma_f32 v[28:29], v[68:69], v[22:23], v[28:29] op_sel:[1,0,0]
	s_waitcnt lgkmcnt(0)
	v_pk_fma_f32 v[26:27], v[90:91], v[12:13], v[26:27] op_sel_hi:[0,1,1]
	v_pk_fma_f32 v[24:25], v[90:91], v[14:15], v[24:25] op_sel_hi:[0,1,1]
	ds_read2_b32 v[94:95], v85 offset0:47 offset1:48
	ds_read2_b32 v[70:71], v85 offset0:49 offset1:50
	;; [unrolled: 1-line block ×3, first 2 shown]
	v_pk_fma_f32 v[26:27], v[90:91], v[20:21], v[26:27] op_sel:[1,0,0]
	v_pk_fma_f32 v[24:25], v[90:91], v[22:23], v[24:25] op_sel:[1,0,0]
	ds_read_b128 v[90:93], v86 offset:1280
	v_pk_fma_f32 v[12:13], v[0:1], v[12:13], v[60:61] op_sel:[1,0,0]
	v_pk_fma_f32 v[60:61], v[2:3], v[20:21], v[12:13] op_sel_hi:[0,1,1]
	v_pk_fma_f32 v[0:1], v[0:1], v[14:15], v[64:65] op_sel:[1,0,0]
	ds_read_b128 v[12:15], v86 offset:1408
	v_pk_fma_f32 v[20:21], v[66:67], v[8:9], v[52:53] op_sel_hi:[0,1,1]
	v_pk_fma_f32 v[0:1], v[2:3], v[22:23], v[0:1] op_sel_hi:[0,1,1]
	s_waitcnt lgkmcnt(1)
	v_pk_fma_f32 v[52:53], v[66:67], v[90:91], v[20:21] op_sel:[1,0,0]
	ds_read_b128 v[20:23], v86 offset:1536
	v_pk_fma_f32 v[50:51], v[66:67], v[10:11], v[50:51] op_sel_hi:[0,1,1]
	v_pk_fma_f32 v[50:51], v[66:67], v[92:93], v[50:51] op_sel:[1,0,0]
	ds_read_b128 v[64:67], v86 offset:1664
	v_mov_b32_e32 v2, v3
	s_waitcnt lgkmcnt(2)
	v_pk_fma_f32 v[50:51], v[62:63], v[14:15], v[50:51] op_sel_hi:[0,1,1]
	v_pk_fma_f32 v[96:97], v[2:3], v[16:17], v[60:61] op_sel_hi:[0,1,1]
	;; [unrolled: 1-line block ×3, first 2 shown]
	ds_read_b128 v[0:3], v86 offset:1792
	s_waitcnt lgkmcnt(2)
	v_pk_fma_f32 v[50:51], v[62:63], v[22:23], v[50:51] op_sel:[1,0,0]
	v_pk_fma_f32 v[52:53], v[62:63], v[12:13], v[52:53] op_sel_hi:[0,1,1]
	v_pk_fma_f32 v[32:33], v[58:59], v[16:17], v[32:33] op_sel_hi:[0,1,1]
	;; [unrolled: 1-line block ×3, first 2 shown]
	s_waitcnt lgkmcnt(1)
	v_pk_fma_f32 v[26:27], v[54:55], v[66:67], v[50:51] op_sel_hi:[0,1,1]
	ds_read2_b32 v[50:51], v85 offset0:31 offset1:32
	v_pk_fma_f32 v[52:53], v[62:63], v[20:21], v[52:53] op_sel:[1,0,0]
	v_pk_fma_f32 v[28:29], v[58:59], v[18:19], v[28:29] op_sel_hi:[0,1,1]
	v_pk_fma_f32 v[18:19], v[94:95], v[18:19], v[24:25] op_sel_hi:[0,1,1]
	;; [unrolled: 1-line block ×3, first 2 shown]
	ds_read2_b32 v[52:53], v85 offset0:33 offset1:34
	v_pk_fma_f32 v[32:33], v[58:59], v[4:5], v[32:33] op_sel:[1,0,0]
	v_pk_fma_f32 v[28:29], v[58:59], v[6:7], v[28:29] op_sel:[1,0,0]
	ds_read_b128 v[60:63], v86 offset:1920
	s_waitcnt lgkmcnt(3)
	v_pk_fma_f32 v[24:25], v[54:55], v[0:1], v[24:25] op_sel:[1,0,0]
	v_pk_fma_f32 v[26:27], v[54:55], v[2:3], v[26:27] op_sel:[1,0,0]
	v_pk_fma_f32 v[32:33], v[56:57], v[8:9], v[32:33] op_sel_hi:[0,1,1]
	v_pk_fma_f32 v[28:29], v[56:57], v[10:11], v[28:29] op_sel_hi:[0,1,1]
	ds_read2_b32 v[54:55], v85 offset0:15 offset1:35
	v_pk_fma_f32 v[32:33], v[56:57], v[90:91], v[32:33] op_sel:[1,0,0]
	v_pk_fma_f32 v[28:29], v[56:57], v[92:93], v[28:29] op_sel:[1,0,0]
	s_waitcnt lgkmcnt(3)
	v_pk_fma_f32 v[32:33], v[50:51], v[12:13], v[32:33] op_sel_hi:[0,1,1]
	v_pk_fma_f32 v[28:29], v[50:51], v[14:15], v[28:29] op_sel_hi:[0,1,1]
	v_pk_fma_f32 v[32:33], v[50:51], v[20:21], v[32:33] op_sel:[1,0,0]
	v_pk_fma_f32 v[28:29], v[50:51], v[22:23], v[28:29] op_sel:[1,0,0]
	s_waitcnt lgkmcnt(2)
	v_pk_fma_f32 v[32:33], v[52:53], v[64:65], v[32:33] op_sel_hi:[0,1,1]
	v_pk_fma_f32 v[28:29], v[52:53], v[66:67], v[28:29] op_sel_hi:[0,1,1]
	v_pk_fma_f32 v[32:33], v[52:53], v[0:1], v[32:33] op_sel:[1,0,0]
	v_pk_fma_f32 v[28:29], v[52:53], v[2:3], v[28:29] op_sel:[1,0,0]
	s_waitcnt lgkmcnt(0)
	v_pk_fma_f32 v[52:53], v[54:55], v[60:61], v[24:25] op_sel_hi:[0,1,1]
	v_mov_b32_e32 v24, v55
	v_pk_fma_f32 v[16:17], v[94:95], v[4:5], v[16:17] op_sel:[1,0,0]
	v_pk_fma_f32 v[32:33], v[24:25], v[60:61], v[32:33] op_sel_hi:[0,1,1]
	v_pk_fma_f32 v[28:29], v[24:25], v[62:63], v[28:29] op_sel_hi:[0,1,1]
	ds_read2_b32 v[24:25], v85 offset0:53 offset1:54
	ds_read_b32 v58, v85 offset:220
	v_pk_fma_f32 v[16:17], v[70:71], v[8:9], v[16:17] op_sel_hi:[0,1,1]
	v_pk_fma_f32 v[16:17], v[70:71], v[90:91], v[16:17] op_sel:[1,0,0]
	v_pk_fma_f32 v[16:17], v[68:69], v[12:13], v[16:17] op_sel_hi:[0,1,1]
	v_pk_fma_f32 v[16:17], v[68:69], v[20:21], v[16:17] op_sel:[1,0,0]
	s_waitcnt lgkmcnt(1)
	v_pk_fma_f32 v[16:17], v[24:25], v[64:65], v[16:17] op_sel_hi:[0,1,1]
	v_pk_fma_f32 v[50:51], v[54:55], v[62:63], v[26:27] op_sel_hi:[0,1,1]
	v_pk_fma_f32 v[18:19], v[94:95], v[6:7], v[18:19] op_sel:[1,0,0]
	v_pk_fma_f32 v[16:17], v[24:25], v[0:1], v[16:17] op_sel:[1,0,0]
	ds_read_b128 v[54:57], v85 offset:272
	s_waitcnt lgkmcnt(1)
	v_pk_fma_f32 v[26:27], v[58:59], v[60:61], v[16:17] op_sel_hi:[0,1,1]
	v_pk_fma_f32 v[16:17], v[70:71], v[10:11], v[18:19] op_sel_hi:[0,1,1]
	v_pk_fma_f32 v[16:17], v[70:71], v[92:93], v[16:17] op_sel:[1,0,0]
	v_pk_fma_f32 v[16:17], v[68:69], v[14:15], v[16:17] op_sel_hi:[0,1,1]
	v_pk_fma_f32 v[16:17], v[68:69], v[22:23], v[16:17] op_sel:[1,0,0]
	ds_read_b128 v[68:71], v85 offset:288
	s_waitcnt lgkmcnt(1)
	v_pk_fma_f32 v[4:5], v[54:55], v[4:5], v[96:97] op_sel_hi:[0,1,1]
	v_pk_fma_f32 v[4:5], v[54:55], v[8:9], v[4:5] op_sel:[1,0,0]
	v_pk_fma_f32 v[4:5], v[56:57], v[90:91], v[4:5] op_sel_hi:[0,1,1]
	v_mov_b32_e32 v8, v57
	v_pk_fma_f32 v[4:5], v[8:9], v[12:13], v[4:5] op_sel_hi:[0,1,1]
	s_waitcnt lgkmcnt(0)
	v_pk_fma_f32 v[4:5], v[68:69], v[20:21], v[4:5] op_sel_hi:[0,1,1]
	v_pk_fma_f32 v[4:5], v[68:69], v[64:65], v[4:5] op_sel:[1,0,0]
	v_pk_fma_f32 v[6:7], v[54:55], v[6:7], v[98:99] op_sel_hi:[0,1,1]
	v_pk_fma_f32 v[0:1], v[70:71], v[0:1], v[4:5] op_sel_hi:[0,1,1]
	v_mov_b32_e32 v4, v71
	v_pk_fma_f32 v[18:19], v[4:5], v[60:61], v[0:1] op_sel_hi:[0,1,1]
	v_pk_fma_f32 v[0:1], v[54:55], v[10:11], v[6:7] op_sel:[1,0,0]
	v_pk_fma_f32 v[0:1], v[56:57], v[92:93], v[0:1] op_sel_hi:[0,1,1]
	v_pk_fma_f32 v[0:1], v[8:9], v[14:15], v[0:1] op_sel_hi:[0,1,1]
	;; [unrolled: 1-line block ×4, first 2 shown]
	v_pk_fma_f32 v[0:1], v[68:69], v[66:67], v[0:1] op_sel:[1,0,0]
	v_pk_fma_f32 v[16:17], v[24:25], v[2:3], v[16:17] op_sel:[1,0,0]
	v_pk_fma_f32 v[0:1], v[70:71], v[2:3], v[0:1] op_sel_hi:[0,1,1]
	s_add_i32 s53, s53, -1
	s_add_i32 s52, s52, 16
	v_pk_fma_f32 v[24:25], v[58:59], v[62:63], v[16:17] op_sel_hi:[0,1,1]
	v_pk_fma_f32 v[16:17], v[4:5], v[62:63], v[0:1] op_sel_hi:[0,1,1]
	s_cmp_eq_u32 s53, 0
	v_add_u32_e32 v88, s54, v88
	s_barrier
	s_cbranch_scc1 .LBB2_63
.LBB2_3:                                ; =>This Inner Loop Header: Depth=1
	v_add_u32_e32 v0, s52, v30
	v_cmp_gt_i32_e64 s[30:31], s38, v0
	s_and_b64 s[34:35], s[30:31], s[0:1]
	s_and_b64 s[34:35], vcc, s[34:35]
	s_xor_b64 s[34:35], s[34:35], -1
	s_and_saveexec_b64 s[50:51], s[34:35]
	s_xor_b64 s[34:35], exec, s[50:51]
	s_cbranch_execz .LBB2_7
; %bb.4:                                ;   in Loop: Header=BB2_3 Depth=1
	s_and_saveexec_b64 s[50:51], s[0:1]
	s_cbranch_execz .LBB2_6
; %bb.5:                                ;   in Loop: Header=BB2_3 Depth=1
	ds_write_b32 v73, v35
.LBB2_6:                                ;   in Loop: Header=BB2_3 Depth=1
	s_or_b64 exec, exec, s[50:51]
.LBB2_7:                                ;   in Loop: Header=BB2_3 Depth=1
	s_andn2_saveexec_b64 s[50:51], s[34:35]
	s_cbranch_execz .LBB2_9
; %bb.8:                                ;   in Loop: Header=BB2_3 Depth=1
	v_add_u32_e32 v0, s52, v48
	v_ashrrev_i32_e32 v1, 31, v0
	v_lshlrev_b64 v[0:1], 2, v[0:1]
	v_mov_b32_e32 v2, s41
	v_add_co_u32_e64 v0, s[34:35], s40, v0
	v_addc_co_u32_e64 v1, s[34:35], v2, v1, s[34:35]
	global_load_dword v0, v[0:1], off
	s_waitcnt vmcnt(0)
	ds_write_b32 v73, v0
.LBB2_9:                                ;   in Loop: Header=BB2_3 Depth=1
	s_or_b64 exec, exec, s[50:51]
	s_and_b64 s[34:35], s[30:31], s[4:5]
	s_and_b64 s[34:35], s[2:3], s[34:35]
	s_xor_b64 s[34:35], s[34:35], -1
	s_and_saveexec_b64 s[50:51], s[34:35]
	s_xor_b64 s[34:35], exec, s[50:51]
	s_cbranch_execz .LBB2_13
; %bb.10:                               ;   in Loop: Header=BB2_3 Depth=1
	s_and_saveexec_b64 s[50:51], s[4:5]
	s_cbranch_execz .LBB2_12
; %bb.11:                               ;   in Loop: Header=BB2_3 Depth=1
	ds_write_b32 v74, v35
.LBB2_12:                               ;   in Loop: Header=BB2_3 Depth=1
	s_or_b64 exec, exec, s[50:51]
.LBB2_13:                               ;   in Loop: Header=BB2_3 Depth=1
	s_andn2_saveexec_b64 s[50:51], s[34:35]
	s_cbranch_execz .LBB2_15
; %bb.14:                               ;   in Loop: Header=BB2_3 Depth=1
	v_add_u32_e32 v0, s52, v46
	v_ashrrev_i32_e32 v1, 31, v0
	v_lshlrev_b64 v[0:1], 2, v[0:1]
	v_mov_b32_e32 v2, s41
	v_add_co_u32_e64 v0, s[34:35], s40, v0
	v_addc_co_u32_e64 v1, s[34:35], v2, v1, s[34:35]
	global_load_dword v0, v[0:1], off
	s_waitcnt vmcnt(0)
	ds_write_b32 v74, v0
.LBB2_15:                               ;   in Loop: Header=BB2_3 Depth=1
	s_or_b64 exec, exec, s[50:51]
	s_and_b64 s[34:35], s[30:31], s[8:9]
	s_and_b64 s[34:35], s[6:7], s[34:35]
	s_xor_b64 s[34:35], s[34:35], -1
	s_and_saveexec_b64 s[50:51], s[34:35]
	s_xor_b64 s[34:35], exec, s[50:51]
	s_cbranch_execz .LBB2_19
; %bb.16:                               ;   in Loop: Header=BB2_3 Depth=1
	s_and_saveexec_b64 s[50:51], s[8:9]
	s_cbranch_execz .LBB2_18
; %bb.17:                               ;   in Loop: Header=BB2_3 Depth=1
	ds_write_b32 v75, v35
.LBB2_18:                               ;   in Loop: Header=BB2_3 Depth=1
	s_or_b64 exec, exec, s[50:51]
.LBB2_19:                               ;   in Loop: Header=BB2_3 Depth=1
	s_andn2_saveexec_b64 s[50:51], s[34:35]
	s_cbranch_execz .LBB2_21
; %bb.20:                               ;   in Loop: Header=BB2_3 Depth=1
	v_add_u32_e32 v0, s52, v44
	v_ashrrev_i32_e32 v1, 31, v0
	v_lshlrev_b64 v[0:1], 2, v[0:1]
	v_mov_b32_e32 v2, s41
	v_add_co_u32_e64 v0, s[34:35], s40, v0
	v_addc_co_u32_e64 v1, s[34:35], v2, v1, s[34:35]
	global_load_dword v0, v[0:1], off
	s_waitcnt vmcnt(0)
	ds_write_b32 v75, v0
.LBB2_21:                               ;   in Loop: Header=BB2_3 Depth=1
	;; [unrolled: 28-line block ×7, first 2 shown]
	s_or_b64 exec, exec, s[34:35]
	v_add_u32_e32 v0, s52, v81
	v_cmp_le_i32_e64 s[30:31], s38, v0
	s_or_b64 s[30:31], s[30:31], s[46:47]
	s_and_saveexec_b64 s[34:35], s[30:31]
	s_xor_b64 s[30:31], exec, s[34:35]
	s_cbranch_execz .LBB2_55
; %bb.52:                               ;   in Loop: Header=BB2_3 Depth=1
	s_and_saveexec_b64 s[34:35], s[24:25]
	s_cbranch_execz .LBB2_54
; %bb.53:                               ;   in Loop: Header=BB2_3 Depth=1
	ds_write_b32 v82, v35
.LBB2_54:                               ;   in Loop: Header=BB2_3 Depth=1
	s_or_b64 exec, exec, s[34:35]
.LBB2_55:                               ;   in Loop: Header=BB2_3 Depth=1
	s_andn2_saveexec_b64 s[34:35], s[30:31]
	s_cbranch_execz .LBB2_57
; %bb.56:                               ;   in Loop: Header=BB2_3 Depth=1
	v_add_u32_e32 v0, v87, v88
	v_ashrrev_i32_e32 v1, 31, v0
	v_lshlrev_b64 v[0:1], 2, v[0:1]
	v_mov_b32_e32 v2, s43
	v_add_co_u32_e64 v0, s[30:31], s42, v0
	v_addc_co_u32_e64 v1, s[30:31], v2, v1, s[30:31]
	global_load_dword v0, v[0:1], off
	s_waitcnt vmcnt(0)
	ds_write_b32 v82, v0
.LBB2_57:                               ;   in Loop: Header=BB2_3 Depth=1
	s_or_b64 exec, exec, s[34:35]
	v_add_u32_e32 v0, s52, v83
	v_cmp_le_i32_e64 s[30:31], s38, v0
	s_or_b64 s[30:31], s[30:31], s[48:49]
	s_and_saveexec_b64 s[34:35], s[30:31]
	s_xor_b64 s[30:31], exec, s[34:35]
	s_cbranch_execz .LBB2_61
; %bb.58:                               ;   in Loop: Header=BB2_3 Depth=1
	s_and_saveexec_b64 s[34:35], s[28:29]
	s_cbranch_execz .LBB2_60
; %bb.59:                               ;   in Loop: Header=BB2_3 Depth=1
	ds_write_b32 v84, v35
.LBB2_60:                               ;   in Loop: Header=BB2_3 Depth=1
	s_or_b64 exec, exec, s[34:35]
.LBB2_61:                               ;   in Loop: Header=BB2_3 Depth=1
	s_andn2_saveexec_b64 s[34:35], s[30:31]
	s_cbranch_execz .LBB2_2
; %bb.62:                               ;   in Loop: Header=BB2_3 Depth=1
	v_add_u32_e32 v0, v89, v88
	v_ashrrev_i32_e32 v1, 31, v0
	v_lshlrev_b64 v[0:1], 2, v[0:1]
	v_mov_b32_e32 v2, s43
	v_add_co_u32_e64 v0, s[30:31], s42, v0
	v_addc_co_u32_e64 v1, s[30:31], v2, v1, s[30:31]
	global_load_dword v0, v[0:1], off
	s_waitcnt vmcnt(0)
	ds_write_b32 v84, v0
	s_branch .LBB2_2
.LBB2_63:
	v_add_u32_e32 v1, s33, v31
	v_or_b32_e32 v0, s39, v72
	v_cmp_gt_i32_e64 s[6:7], s36, v1
	v_cmp_gt_i32_e32 vcc, s37, v0
	v_mul_lo_u32 v2, v1, s37
	s_and_b64 s[0:1], s[6:7], vcc
	s_and_saveexec_b64 s[2:3], s[0:1]
	s_cbranch_execz .LBB2_65
; %bb.64:
	v_add_u32_e32 v4, v0, v2
	v_ashrrev_i32_e32 v5, 31, v4
	v_lshlrev_b64 v[4:5], 2, v[4:5]
	v_mov_b32_e32 v3, s45
	v_add_co_u32_e64 v4, s[0:1], s44, v4
	v_addc_co_u32_e64 v5, s[0:1], v3, v5, s[0:1]
	global_store_dword v[4:5], v52, off
.LBB2_65:
	s_or_b64 exec, exec, s[2:3]
	v_or_b32_e32 v3, 1, v0
	v_cmp_gt_i32_e64 s[0:1], s37, v3
	s_and_b64 s[2:3], s[6:7], s[0:1]
	s_and_saveexec_b64 s[4:5], s[2:3]
	s_cbranch_execz .LBB2_67
; %bb.66:
	v_ashrrev_i32_e32 v3, 31, v2
	v_ashrrev_i32_e32 v5, 31, v0
	v_add_co_u32_e64 v4, s[2:3], v0, v2
	v_addc_co_u32_e64 v5, s[2:3], v5, v3, s[2:3]
	v_lshlrev_b64 v[4:5], 2, v[4:5]
	v_mov_b32_e32 v3, s45
	v_add_co_u32_e64 v4, s[2:3], s44, v4
	v_addc_co_u32_e64 v5, s[2:3], v3, v5, s[2:3]
	global_store_dword v[4:5], v53, off offset:4
.LBB2_67:
	s_or_b64 exec, exec, s[4:5]
	v_or_b32_e32 v3, 2, v0
	v_cmp_gt_i32_e64 s[2:3], s37, v3
	s_and_b64 s[4:5], s[6:7], s[2:3]
	s_and_saveexec_b64 s[8:9], s[4:5]
	s_cbranch_execz .LBB2_69
; %bb.68:
	v_ashrrev_i32_e32 v3, 31, v2
	v_ashrrev_i32_e32 v5, 31, v0
	v_add_co_u32_e64 v4, s[4:5], v0, v2
	v_addc_co_u32_e64 v5, s[4:5], v5, v3, s[4:5]
	v_lshlrev_b64 v[4:5], 2, v[4:5]
	v_mov_b32_e32 v3, s45
	v_add_co_u32_e64 v4, s[4:5], s44, v4
	v_addc_co_u32_e64 v5, s[4:5], v3, v5, s[4:5]
	global_store_dword v[4:5], v50, off offset:8
.LBB2_69:
	;; [unrolled: 17-line block ×3, first 2 shown]
	s_or_b64 exec, exec, s[8:9]
	v_or_b32_e32 v3, 1, v1
	v_cmp_gt_i32_e64 s[6:7], s36, v3
	v_add_u32_e32 v2, s37, v2
	s_and_b64 s[8:9], s[6:7], vcc
	s_and_saveexec_b64 s[10:11], s[8:9]
	s_cbranch_execnz .LBB2_86
; %bb.72:
	s_or_b64 exec, exec, s[10:11]
	s_and_b64 s[8:9], s[6:7], s[0:1]
	s_and_saveexec_b64 s[10:11], s[8:9]
	s_cbranch_execnz .LBB2_87
.LBB2_73:
	s_or_b64 exec, exec, s[10:11]
	s_and_b64 s[8:9], s[6:7], s[2:3]
	s_and_saveexec_b64 s[10:11], s[8:9]
	s_cbranch_execnz .LBB2_88
.LBB2_74:
	s_or_b64 exec, exec, s[10:11]
	s_and_b64 s[6:7], s[6:7], s[4:5]
	s_and_saveexec_b64 s[8:9], s[6:7]
	s_cbranch_execz .LBB2_76
.LBB2_75:
	v_ashrrev_i32_e32 v3, 31, v2
	v_ashrrev_i32_e32 v5, 31, v0
	v_add_co_u32_e64 v4, s[6:7], v0, v2
	v_addc_co_u32_e64 v5, s[6:7], v5, v3, s[6:7]
	v_lshlrev_b64 v[4:5], 2, v[4:5]
	v_mov_b32_e32 v3, s45
	v_add_co_u32_e64 v4, s[6:7], s44, v4
	v_addc_co_u32_e64 v5, s[6:7], v3, v5, s[6:7]
	global_store_dword v[4:5], v29, off offset:12
.LBB2_76:
	s_or_b64 exec, exec, s[8:9]
	v_or_b32_e32 v3, 2, v1
	v_cmp_gt_i32_e64 s[6:7], s36, v3
	v_add_u32_e32 v2, s37, v2
	s_and_b64 s[8:9], s[6:7], vcc
	s_and_saveexec_b64 s[10:11], s[8:9]
	s_cbranch_execnz .LBB2_89
; %bb.77:
	s_or_b64 exec, exec, s[10:11]
	s_and_b64 s[8:9], s[6:7], s[0:1]
	s_and_saveexec_b64 s[10:11], s[8:9]
	s_cbranch_execnz .LBB2_90
.LBB2_78:
	s_or_b64 exec, exec, s[10:11]
	s_and_b64 s[8:9], s[6:7], s[2:3]
	s_and_saveexec_b64 s[10:11], s[8:9]
	s_cbranch_execnz .LBB2_91
.LBB2_79:
	s_or_b64 exec, exec, s[10:11]
	s_and_b64 s[6:7], s[6:7], s[4:5]
	s_and_saveexec_b64 s[8:9], s[6:7]
	s_cbranch_execz .LBB2_81
.LBB2_80:
	v_ashrrev_i32_e32 v3, 31, v2
	v_ashrrev_i32_e32 v5, 31, v0
	v_add_co_u32_e64 v4, s[6:7], v0, v2
	v_addc_co_u32_e64 v5, s[6:7], v5, v3, s[6:7]
	v_lshlrev_b64 v[4:5], 2, v[4:5]
	v_mov_b32_e32 v3, s45
	v_add_co_u32_e64 v4, s[6:7], s44, v4
	v_addc_co_u32_e64 v5, s[6:7], v3, v5, s[6:7]
	global_store_dword v[4:5], v25, off offset:12
.LBB2_81:
	s_or_b64 exec, exec, s[8:9]
	v_or_b32_e32 v1, 3, v1
	v_cmp_gt_i32_e64 s[6:7], s36, v1
	v_add_u32_e32 v1, s37, v2
	s_and_b64 s[10:11], s[6:7], vcc
	s_and_saveexec_b64 s[8:9], s[10:11]
	s_cbranch_execnz .LBB2_92
; %bb.82:
	s_or_b64 exec, exec, s[8:9]
	s_and_b64 s[8:9], s[6:7], s[0:1]
	s_and_saveexec_b64 s[0:1], s[8:9]
	s_cbranch_execnz .LBB2_93
.LBB2_83:
	s_or_b64 exec, exec, s[0:1]
	s_and_b64 s[2:3], s[6:7], s[2:3]
	s_and_saveexec_b64 s[0:1], s[2:3]
	s_cbranch_execnz .LBB2_94
.LBB2_84:
	s_or_b64 exec, exec, s[0:1]
	s_and_b64 s[0:1], s[6:7], s[4:5]
	s_and_saveexec_b64 s[2:3], s[0:1]
	s_cbranch_execnz .LBB2_95
.LBB2_85:
	s_endpgm
.LBB2_86:
	v_add_u32_e32 v4, v0, v2
	v_ashrrev_i32_e32 v5, 31, v4
	v_lshlrev_b64 v[4:5], 2, v[4:5]
	v_mov_b32_e32 v3, s45
	v_add_co_u32_e64 v4, s[8:9], s44, v4
	v_addc_co_u32_e64 v5, s[8:9], v3, v5, s[8:9]
	global_store_dword v[4:5], v32, off
	s_or_b64 exec, exec, s[10:11]
	s_and_b64 s[8:9], s[6:7], s[0:1]
	s_and_saveexec_b64 s[10:11], s[8:9]
	s_cbranch_execz .LBB2_73
.LBB2_87:
	v_ashrrev_i32_e32 v3, 31, v2
	v_ashrrev_i32_e32 v5, 31, v0
	v_add_co_u32_e64 v4, s[8:9], v0, v2
	v_addc_co_u32_e64 v5, s[8:9], v5, v3, s[8:9]
	v_lshlrev_b64 v[4:5], 2, v[4:5]
	v_mov_b32_e32 v3, s45
	v_add_co_u32_e64 v4, s[8:9], s44, v4
	v_addc_co_u32_e64 v5, s[8:9], v3, v5, s[8:9]
	global_store_dword v[4:5], v33, off offset:4
	s_or_b64 exec, exec, s[10:11]
	s_and_b64 s[8:9], s[6:7], s[2:3]
	s_and_saveexec_b64 s[10:11], s[8:9]
	s_cbranch_execz .LBB2_74
.LBB2_88:
	v_ashrrev_i32_e32 v3, 31, v2
	v_ashrrev_i32_e32 v5, 31, v0
	v_add_co_u32_e64 v4, s[8:9], v0, v2
	v_addc_co_u32_e64 v5, s[8:9], v5, v3, s[8:9]
	v_lshlrev_b64 v[4:5], 2, v[4:5]
	v_mov_b32_e32 v3, s45
	v_add_co_u32_e64 v4, s[8:9], s44, v4
	v_addc_co_u32_e64 v5, s[8:9], v3, v5, s[8:9]
	global_store_dword v[4:5], v28, off offset:8
	s_or_b64 exec, exec, s[10:11]
	s_and_b64 s[6:7], s[6:7], s[4:5]
	s_and_saveexec_b64 s[8:9], s[6:7]
	s_cbranch_execnz .LBB2_75
	s_branch .LBB2_76
.LBB2_89:
	v_add_u32_e32 v4, v0, v2
	v_ashrrev_i32_e32 v5, 31, v4
	v_lshlrev_b64 v[4:5], 2, v[4:5]
	v_mov_b32_e32 v3, s45
	v_add_co_u32_e64 v4, s[8:9], s44, v4
	v_addc_co_u32_e64 v5, s[8:9], v3, v5, s[8:9]
	global_store_dword v[4:5], v26, off
	s_or_b64 exec, exec, s[10:11]
	s_and_b64 s[8:9], s[6:7], s[0:1]
	s_and_saveexec_b64 s[10:11], s[8:9]
	s_cbranch_execz .LBB2_78
.LBB2_90:
	v_ashrrev_i32_e32 v3, 31, v2
	v_ashrrev_i32_e32 v5, 31, v0
	v_add_co_u32_e64 v4, s[8:9], v0, v2
	v_addc_co_u32_e64 v5, s[8:9], v5, v3, s[8:9]
	v_lshlrev_b64 v[4:5], 2, v[4:5]
	v_mov_b32_e32 v3, s45
	v_add_co_u32_e64 v4, s[8:9], s44, v4
	v_addc_co_u32_e64 v5, s[8:9], v3, v5, s[8:9]
	global_store_dword v[4:5], v27, off offset:4
	s_or_b64 exec, exec, s[10:11]
	s_and_b64 s[8:9], s[6:7], s[2:3]
	s_and_saveexec_b64 s[10:11], s[8:9]
	s_cbranch_execz .LBB2_79
.LBB2_91:
	v_ashrrev_i32_e32 v3, 31, v2
	v_ashrrev_i32_e32 v5, 31, v0
	v_add_co_u32_e64 v4, s[8:9], v0, v2
	v_addc_co_u32_e64 v5, s[8:9], v5, v3, s[8:9]
	v_lshlrev_b64 v[4:5], 2, v[4:5]
	v_mov_b32_e32 v3, s45
	v_add_co_u32_e64 v4, s[8:9], s44, v4
	v_addc_co_u32_e64 v5, s[8:9], v3, v5, s[8:9]
	global_store_dword v[4:5], v24, off offset:8
	s_or_b64 exec, exec, s[10:11]
	s_and_b64 s[6:7], s[6:7], s[4:5]
	s_and_saveexec_b64 s[8:9], s[6:7]
	s_cbranch_execnz .LBB2_80
	s_branch .LBB2_81
.LBB2_92:
	v_add_u32_e32 v2, v0, v1
	v_ashrrev_i32_e32 v3, 31, v2
	v_lshlrev_b64 v[2:3], 2, v[2:3]
	v_mov_b32_e32 v4, s45
	v_add_co_u32_e32 v2, vcc, s44, v2
	v_addc_co_u32_e32 v3, vcc, v4, v3, vcc
	global_store_dword v[2:3], v18, off
	s_or_b64 exec, exec, s[8:9]
	s_and_b64 s[8:9], s[6:7], s[0:1]
	s_and_saveexec_b64 s[0:1], s[8:9]
	s_cbranch_execz .LBB2_83
.LBB2_93:
	v_ashrrev_i32_e32 v3, 31, v1
	v_ashrrev_i32_e32 v4, 31, v0
	v_add_co_u32_e32 v2, vcc, v0, v1
	v_addc_co_u32_e32 v3, vcc, v4, v3, vcc
	v_lshlrev_b64 v[2:3], 2, v[2:3]
	v_mov_b32_e32 v4, s45
	v_add_co_u32_e32 v2, vcc, s44, v2
	v_addc_co_u32_e32 v3, vcc, v4, v3, vcc
	global_store_dword v[2:3], v19, off offset:4
	s_or_b64 exec, exec, s[0:1]
	s_and_b64 s[2:3], s[6:7], s[2:3]
	s_and_saveexec_b64 s[0:1], s[2:3]
	s_cbranch_execz .LBB2_84
.LBB2_94:
	v_ashrrev_i32_e32 v3, 31, v1
	v_ashrrev_i32_e32 v4, 31, v0
	v_add_co_u32_e32 v2, vcc, v0, v1
	v_addc_co_u32_e32 v3, vcc, v4, v3, vcc
	v_lshlrev_b64 v[2:3], 2, v[2:3]
	v_mov_b32_e32 v4, s45
	v_add_co_u32_e32 v2, vcc, s44, v2
	v_addc_co_u32_e32 v3, vcc, v4, v3, vcc
	global_store_dword v[2:3], v16, off offset:8
	s_or_b64 exec, exec, s[0:1]
	s_and_b64 s[0:1], s[6:7], s[4:5]
	s_and_saveexec_b64 s[2:3], s[0:1]
	s_cbranch_execz .LBB2_85
.LBB2_95:
	v_ashrrev_i32_e32 v2, 31, v1
	v_ashrrev_i32_e32 v3, 31, v0
	v_add_co_u32_e32 v0, vcc, v0, v1
	v_addc_co_u32_e32 v1, vcc, v3, v2, vcc
	v_lshlrev_b64 v[0:1], 2, v[0:1]
	v_mov_b32_e32 v2, s45
	v_add_co_u32_e32 v0, vcc, s44, v0
	v_addc_co_u32_e32 v1, vcc, v2, v1, vcc
	global_store_dword v[0:1], v17, off offset:12
	s_endpgm
	.section	.rodata,"a",@progbits
	.p2align	6, 0x0
	.amdhsa_kernel _Z31matrix_multiply_register_tilingPfS_S_iii
		.amdhsa_group_segment_fixed_size 12288
		.amdhsa_private_segment_fixed_size 0
		.amdhsa_kernarg_size 296
		.amdhsa_user_sgpr_count 6
		.amdhsa_user_sgpr_private_segment_buffer 1
		.amdhsa_user_sgpr_dispatch_ptr 0
		.amdhsa_user_sgpr_queue_ptr 0
		.amdhsa_user_sgpr_kernarg_segment_ptr 1
		.amdhsa_user_sgpr_dispatch_id 0
		.amdhsa_user_sgpr_flat_scratch_init 0
		.amdhsa_user_sgpr_kernarg_preload_length 0
		.amdhsa_user_sgpr_kernarg_preload_offset 0
		.amdhsa_user_sgpr_private_segment_size 0
		.amdhsa_uses_dynamic_stack 0
		.amdhsa_system_sgpr_private_segment_wavefront_offset 0
		.amdhsa_system_sgpr_workgroup_id_x 1
		.amdhsa_system_sgpr_workgroup_id_y 1
		.amdhsa_system_sgpr_workgroup_id_z 0
		.amdhsa_system_sgpr_workgroup_info 0
		.amdhsa_system_vgpr_workitem_id 1
		.amdhsa_next_free_vgpr 100
		.amdhsa_next_free_sgpr 55
		.amdhsa_accum_offset 100
		.amdhsa_reserve_vcc 1
		.amdhsa_reserve_flat_scratch 0
		.amdhsa_float_round_mode_32 0
		.amdhsa_float_round_mode_16_64 0
		.amdhsa_float_denorm_mode_32 3
		.amdhsa_float_denorm_mode_16_64 3
		.amdhsa_dx10_clamp 1
		.amdhsa_ieee_mode 1
		.amdhsa_fp16_overflow 0
		.amdhsa_tg_split 0
		.amdhsa_exception_fp_ieee_invalid_op 0
		.amdhsa_exception_fp_denorm_src 0
		.amdhsa_exception_fp_ieee_div_zero 0
		.amdhsa_exception_fp_ieee_overflow 0
		.amdhsa_exception_fp_ieee_underflow 0
		.amdhsa_exception_fp_ieee_inexact 0
		.amdhsa_exception_int_div_zero 0
	.end_amdhsa_kernel
	.text
.Lfunc_end2:
	.size	_Z31matrix_multiply_register_tilingPfS_S_iii, .Lfunc_end2-_Z31matrix_multiply_register_tilingPfS_S_iii
                                        ; -- End function
	.section	.AMDGPU.csdata,"",@progbits
; Kernel info:
; codeLenInByte = 4924
; NumSgprs: 59
; NumVgprs: 100
; NumAgprs: 0
; TotalNumVgprs: 100
; ScratchSize: 0
; MemoryBound: 0
; FloatMode: 240
; IeeeMode: 1
; LDSByteSize: 12288 bytes/workgroup (compile time only)
; SGPRBlocks: 7
; VGPRBlocks: 12
; NumSGPRsForWavesPerEU: 59
; NumVGPRsForWavesPerEU: 100
; AccumOffset: 100
; Occupancy: 4
; WaveLimiterHint : 0
; COMPUTE_PGM_RSRC2:SCRATCH_EN: 0
; COMPUTE_PGM_RSRC2:USER_SGPR: 6
; COMPUTE_PGM_RSRC2:TRAP_HANDLER: 0
; COMPUTE_PGM_RSRC2:TGID_X_EN: 1
; COMPUTE_PGM_RSRC2:TGID_Y_EN: 1
; COMPUTE_PGM_RSRC2:TGID_Z_EN: 0
; COMPUTE_PGM_RSRC2:TIDIG_COMP_CNT: 1
; COMPUTE_PGM_RSRC3_GFX90A:ACCUM_OFFSET: 24
; COMPUTE_PGM_RSRC3_GFX90A:TG_SPLIT: 0
	.text
	.p2alignl 6, 3212836864
	.fill 256, 4, 3212836864
	.type	__hip_cuid_f879132dd49852f0,@object ; @__hip_cuid_f879132dd49852f0
	.section	.bss,"aw",@nobits
	.globl	__hip_cuid_f879132dd49852f0
__hip_cuid_f879132dd49852f0:
	.byte	0                               ; 0x0
	.size	__hip_cuid_f879132dd49852f0, 1

	.ident	"AMD clang version 19.0.0git (https://github.com/RadeonOpenCompute/llvm-project roc-6.4.0 25133 c7fe45cf4b819c5991fe208aaa96edf142730f1d)"
	.section	".note.GNU-stack","",@progbits
	.addrsig
	.addrsig_sym __hip_cuid_f879132dd49852f0
	.amdgpu_metadata
---
amdhsa.kernels:
  - .agpr_count:     0
    .args:
      - .address_space:  global
        .offset:         0
        .size:           8
        .value_kind:     global_buffer
      - .address_space:  global
        .offset:         8
        .size:           8
        .value_kind:     global_buffer
      - .address_space:  global
        .offset:         16
        .size:           8
        .value_kind:     global_buffer
      - .offset:         24
        .size:           4
        .value_kind:     by_value
      - .offset:         28
        .size:           4
        .value_kind:     by_value
      - .offset:         32
        .size:           4
        .value_kind:     by_value
      - .offset:         40
        .size:           4
        .value_kind:     hidden_block_count_x
      - .offset:         44
        .size:           4
        .value_kind:     hidden_block_count_y
      - .offset:         48
        .size:           4
        .value_kind:     hidden_block_count_z
      - .offset:         52
        .size:           2
        .value_kind:     hidden_group_size_x
      - .offset:         54
        .size:           2
        .value_kind:     hidden_group_size_y
      - .offset:         56
        .size:           2
        .value_kind:     hidden_group_size_z
      - .offset:         58
        .size:           2
        .value_kind:     hidden_remainder_x
      - .offset:         60
        .size:           2
        .value_kind:     hidden_remainder_y
      - .offset:         62
        .size:           2
        .value_kind:     hidden_remainder_z
      - .offset:         80
        .size:           8
        .value_kind:     hidden_global_offset_x
      - .offset:         88
        .size:           8
        .value_kind:     hidden_global_offset_y
      - .offset:         96
        .size:           8
        .value_kind:     hidden_global_offset_z
      - .offset:         104
        .size:           2
        .value_kind:     hidden_grid_dims
    .group_segment_fixed_size: 0
    .kernarg_segment_align: 8
    .kernarg_segment_size: 296
    .language:       OpenCL C
    .language_version:
      - 2
      - 0
    .max_flat_workgroup_size: 1024
    .name:           _Z21matrix_multiply_naivePfS_S_iii
    .private_segment_fixed_size: 0
    .sgpr_count:     16
    .sgpr_spill_count: 0
    .symbol:         _Z21matrix_multiply_naivePfS_S_iii.kd
    .uniform_work_group_size: 1
    .uses_dynamic_stack: false
    .vgpr_count:     11
    .vgpr_spill_count: 0
    .wavefront_size: 64
  - .agpr_count:     0
    .args:
      - .address_space:  global
        .offset:         0
        .size:           8
        .value_kind:     global_buffer
      - .address_space:  global
        .offset:         8
        .size:           8
        .value_kind:     global_buffer
      - .address_space:  global
        .offset:         16
        .size:           8
        .value_kind:     global_buffer
      - .offset:         24
        .size:           4
        .value_kind:     by_value
      - .offset:         28
        .size:           4
        .value_kind:     by_value
      - .offset:         32
        .size:           4
        .value_kind:     by_value
    .group_segment_fixed_size: 2048
    .kernarg_segment_align: 8
    .kernarg_segment_size: 36
    .language:       OpenCL C
    .language_version:
      - 2
      - 0
    .max_flat_workgroup_size: 1024
    .name:           _Z26matrix_multiply_lds_tilingPfS_S_iii
    .private_segment_fixed_size: 0
    .sgpr_count:     22
    .sgpr_spill_count: 0
    .symbol:         _Z26matrix_multiply_lds_tilingPfS_S_iii.kd
    .uniform_work_group_size: 1
    .uses_dynamic_stack: false
    .vgpr_count:     34
    .vgpr_spill_count: 0
    .wavefront_size: 64
  - .agpr_count:     0
    .args:
      - .address_space:  global
        .offset:         0
        .size:           8
        .value_kind:     global_buffer
      - .address_space:  global
        .offset:         8
        .size:           8
        .value_kind:     global_buffer
      - .address_space:  global
        .offset:         16
        .size:           8
        .value_kind:     global_buffer
      - .offset:         24
        .size:           4
        .value_kind:     by_value
      - .offset:         28
        .size:           4
        .value_kind:     by_value
      - .offset:         32
        .size:           4
        .value_kind:     by_value
      - .offset:         40
        .size:           4
        .value_kind:     hidden_block_count_x
      - .offset:         44
        .size:           4
        .value_kind:     hidden_block_count_y
      - .offset:         48
        .size:           4
        .value_kind:     hidden_block_count_z
      - .offset:         52
        .size:           2
        .value_kind:     hidden_group_size_x
      - .offset:         54
        .size:           2
        .value_kind:     hidden_group_size_y
      - .offset:         56
        .size:           2
        .value_kind:     hidden_group_size_z
      - .offset:         58
        .size:           2
        .value_kind:     hidden_remainder_x
      - .offset:         60
        .size:           2
        .value_kind:     hidden_remainder_y
      - .offset:         62
        .size:           2
        .value_kind:     hidden_remainder_z
      - .offset:         80
        .size:           8
        .value_kind:     hidden_global_offset_x
      - .offset:         88
        .size:           8
        .value_kind:     hidden_global_offset_y
      - .offset:         96
        .size:           8
        .value_kind:     hidden_global_offset_z
      - .offset:         104
        .size:           2
        .value_kind:     hidden_grid_dims
    .group_segment_fixed_size: 12288
    .kernarg_segment_align: 8
    .kernarg_segment_size: 296
    .language:       OpenCL C
    .language_version:
      - 2
      - 0
    .max_flat_workgroup_size: 1024
    .name:           _Z31matrix_multiply_register_tilingPfS_S_iii
    .private_segment_fixed_size: 0
    .sgpr_count:     59
    .sgpr_spill_count: 0
    .symbol:         _Z31matrix_multiply_register_tilingPfS_S_iii.kd
    .uniform_work_group_size: 1
    .uses_dynamic_stack: false
    .vgpr_count:     100
    .vgpr_spill_count: 0
    .wavefront_size: 64
amdhsa.target:   amdgcn-amd-amdhsa--gfx90a
amdhsa.version:
  - 1
  - 2
...

	.end_amdgpu_metadata
